;; amdgpu-corpus repo=ROCm/bitsandbytes kind=harvested arch=n/a opt=n/a
	.text
	.amdgcn_target "amdgcn-amd-amdhsa--gfx942"
	.amdhsa_code_object_version 6
	.protected	_Z35kOptimizerStatic8bit1StateBlockwiseI12hip_bfloat16Li4ELi256ELi1EEvPT_S2_PhfffifPfS4_ffbi ; -- Begin function _Z35kOptimizerStatic8bit1StateBlockwiseI12hip_bfloat16Li4ELi256ELi1EEvPT_S2_PhfffifPfS4_ffbi
	.globl	_Z35kOptimizerStatic8bit1StateBlockwiseI12hip_bfloat16Li4ELi256ELi1EEvPT_S2_PhfffifPfS4_ffbi
	.p2align	8
	.type	_Z35kOptimizerStatic8bit1StateBlockwiseI12hip_bfloat16Li4ELi256ELi1EEvPT_S2_PhfffifPfS4_ffbi,@function
_Z35kOptimizerStatic8bit1StateBlockwiseI12hip_bfloat16Li4ELi256ELi1EEvPT_S2_PhfffifPfS4_ffbi: ; @_Z35kOptimizerStatic8bit1StateBlockwiseI12hip_bfloat16Li4ELi256ELi1EEvPT_S2_PhfffifPfS4_ffbi
; %bb.0:
	s_load_dwordx2 s[4:5], s[0:1], 0x30
	s_load_dword s3, s[0:1], 0x50
	v_lshlrev_b32_e32 v1, 2, v0
	s_lshl_b32 s10, s2, 8
	s_waitcnt lgkmcnt(0)
	global_load_dword v2, v1, s[4:5]
	s_lshl_b32 s28, s3, 8
	s_cmp_ge_u32 s10, s28
	s_waitcnt vmcnt(0)
	ds_write_b32 v1, v2
	ds_write_b32 v1, v2 offset:1028
	s_waitcnt lgkmcnt(0)
	s_barrier
	s_cbranch_scc1 .LBB179_47
; %bb.1:
	s_load_dwordx4 s[16:19], s[0:1], 0x40
	s_load_dword s29, s[0:1], 0x20
	s_load_dword s30, s[0:1], 0x28
	s_load_dwordx2 s[24:25], s[0:1], 0x38
	s_load_dwordx4 s[20:23], s[0:1], 0x0
	s_load_dwordx2 s[26:27], s[0:1], 0x10
	v_mbcnt_lo_u32_b32 v1, -1, 0
	v_mbcnt_hi_u32_b32 v6, -1, v1
	v_and_b32_e32 v8, 0xc0, v0
	v_add_u32_e32 v21, v6, v8
	v_mov_b32_e32 v11, 0
	v_lshlrev_b32_e32 v10, 1, v6
	v_mov_b32_e32 v1, 0x810
	s_waitcnt lgkmcnt(0)
	v_lshl_add_u64 v[12:13], s[22:23], 0, v[10:11]
	v_lshlrev_b32_e32 v10, 1, v8
	v_lshl_add_u32 v22, v21, 1, v1
	v_bfrev_b32_e32 v1, 0.5
	v_lshl_add_u64 v[12:13], v[12:13], 0, v[10:11]
	v_lshl_or_b32 v23, v6, 2, v1
	v_lshrrev_b32_e32 v1, 4, v0
	v_mov_b32_e32 v10, 0xa10
	v_and_b32_e32 v3, 1, v0
	v_and_or_b32 v24, v1, 12, v10
	v_and_b32_e32 v1, 3, v6
	v_mul_u32_u24_e32 v20, 0x404, v3
	v_cmp_ne_u32_e32 vcc, 3, v1
	ds_read2_b32 v[4:5], v20 offset0:63 offset1:127
	ds_read_b32 v2, v20 offset:764
	v_lshl_or_b32 v25, v1, 2, v10
	v_addc_co_u32_e32 v10, vcc, 0, v6, vcc
	v_cmp_gt_u32_e32 vcc, 2, v1
	s_bitcmp1_b32 s18, 0
	s_cselect_b64 s[12:13], -1, 0
	v_cndmask_b32_e64 v1, 0, 1, vcc
	v_lshlrev_b32_e32 v1, 1, v1
	s_movk_i32 s31, 0x404
	v_mov_b32_e32 v7, v11
	v_mov_b32_e32 v9, v11
	v_cmp_gt_f32_e64 s[0:1], s16, 0
	v_cmp_eq_u32_e64 s[2:3], 0, v6
	v_cmp_gt_u32_e64 s[4:5], 64, v0
	v_lshlrev_b32_e32 v26, 2, v10
	v_add_lshl_u32 v27, v1, v6, 2
	v_cmp_eq_u32_e64 s[6:7], 0, v0
	v_cmp_ne_u32_e64 s[8:9], 0, v0
	s_sub_i32 s33, s19, s10
	v_mov_b32_e32 v10, s10
	s_xor_b64 s[18:19], s[12:13], -1
	s_movk_i32 s34, 0x7fff
	s_mov_b32 s35, 0xf800000
	v_mov_b32_e32 v28, 0x260
	s_mov_b32 s36, 0x7f800000
	v_lshlrev_b32_e32 v0, 1, v6
	v_lshlrev_b32_e32 v14, 1, v8
	v_mov_b32_e32 v29, 2
	v_mov_b32_e32 v30, 0xbf
	v_mov_b32_e32 v31, 0x7f
	v_not_b32_e32 v32, 31
	v_mov_b32_e32 v33, 0xff
                                        ; implicit-def: $vgpr34
	s_branch .LBB179_3
.LBB179_2:                              ;   in Loop: Header=BB179_3 Depth=1
	s_or_b64 exec, exec, s[12:13]
	v_add_co_u32_e32 v10, vcc, s28, v10
	s_andn2_b64 vcc, exec, vcc
	s_sub_i32 s33, s33, s28
	s_cbranch_vccnz .LBB179_47
.LBB179_3:                              ; =>This Inner Loop Header: Depth=1
	s_min_u32 s10, s33, 0x100
	v_cmp_gt_u32_e64 s[10:11], s10, v21
	v_mov_b32_e32 v1, v11
	s_waitcnt lgkmcnt(0)
	s_barrier
	s_and_saveexec_b64 s[12:13], s[10:11]
	s_cbranch_execz .LBB179_5
; %bb.4:                                ;   in Loop: Header=BB179_3 Depth=1
	v_lshl_add_u64 v[16:17], v[10:11], 1, v[12:13]
	global_load_ushort v1, v[16:17], off
.LBB179_5:                              ;   in Loop: Header=BB179_3 Depth=1
	s_or_b64 exec, exec, s[12:13]
	s_waitcnt vmcnt(0)
	ds_write_b16 v22, v1
	; wave barrier
	ds_read_u16 v36, v22
	v_lshl_add_u64 v[16:17], s[26:27], 0, v[10:11]
	v_lshl_add_u64 v[16:17], v[16:17], 0, v[6:7]
	v_mov_b32_e32 v1, 0x80
	v_lshl_add_u64 v[16:17], v[16:17], 0, v[8:9]
	s_waitcnt lgkmcnt(0)
	s_barrier
	s_and_saveexec_b64 s[12:13], s[10:11]
	s_cbranch_execz .LBB179_7
; %bb.6:                                ;   in Loop: Header=BB179_3 Depth=1
	global_load_ubyte v1, v[16:17], off
.LBB179_7:                              ;   in Loop: Header=BB179_3 Depth=1
	s_or_b64 exec, exec, s[12:13]
	s_waitcnt vmcnt(0)
	ds_write_b8 v21, v1 offset:2064
	; wave barrier
	ds_read_u8 v35, v21 offset:2064
	v_lshlrev_b64 v[18:19], 1, v[10:11]
	v_lshl_add_u64 v[18:19], s[20:21], 0, v[18:19]
	v_mov_b32_e32 v1, 0
	s_waitcnt lgkmcnt(0)
	s_barrier
	s_and_saveexec_b64 s[12:13], s[10:11]
	s_cbranch_execz .LBB179_9
; %bb.8:                                ;   in Loop: Header=BB179_3 Depth=1
	v_mov_b32_e32 v1, v11
	v_lshl_add_u64 v[38:39], v[18:19], 0, v[0:1]
	v_mov_b32_e32 v15, v11
	v_lshl_add_u64 v[38:39], v[38:39], 0, v[14:15]
	global_load_ushort v1, v[38:39], off
.LBB179_9:                              ;   in Loop: Header=BB179_3 Depth=1
	s_or_b64 exec, exec, s[12:13]
	s_waitcnt vmcnt(0)
	ds_write_b16 v22, v1
	; wave barrier
	ds_read_u16 v37, v22
	v_lshlrev_b32_e32 v1, 16, v36
	v_cmp_neq_f32_e32 vcc, 0, v1
	s_or_b64 s[14:15], s[18:19], vcc
	v_lshrrev_b32_e32 v38, 6, v10
	s_waitcnt lgkmcnt(0)
	v_lshlrev_b32_e32 v15, 16, v37
	s_and_saveexec_b64 s[12:13], s[14:15]
	s_cbranch_execz .LBB179_11
; %bb.10:                               ;   in Loop: Header=BB179_3 Depth=1
	global_load_dword v34, v38, s[24:25]
	v_lshlrev_b32_sdwa v35, v29, v35 dst_sel:DWORD dst_unused:UNUSED_PAD src0_sel:DWORD src1_sel:BYTE_0
	v_mad_u32_u24 v35, v3, s31, v35
	ds_read_b32 v35, v35
	v_mul_f32_e32 v39, s17, v1
	v_fma_f32 v40, s16, v15, v39
	v_cndmask_b32_e64 v39, v39, v40, s[0:1]
	s_waitcnt vmcnt(0) lgkmcnt(0)
	v_mul_f32_e32 v34, v35, v34
	v_fmac_f32_e32 v34, v39, v39
.LBB179_11:                             ;   in Loop: Header=BB179_3 Depth=1
	s_or_b64 exec, exec, s[12:13]
	v_max_f32_e64 v35, |v34|, |v34|
	v_max_f32_e32 v35, 0xff7fffff, v35
	s_nop 1
	v_mov_b32_dpp v39, v35 quad_perm:[1,0,3,2] row_mask:0xf bank_mask:0xf
	v_cmp_gt_f32_e32 vcc, v35, v39
	s_nop 1
	v_cndmask_b32_e32 v35, v39, v35, vcc
	s_nop 1
	v_mov_b32_dpp v39, v35 quad_perm:[2,3,0,1] row_mask:0xf bank_mask:0xf
	v_cmp_gt_f32_e32 vcc, v35, v39
	s_nop 1
	v_cndmask_b32_e32 v35, v39, v35, vcc
	s_nop 1
	v_mov_b32_dpp v39, v35 row_ror:4 row_mask:0xf bank_mask:0xf
	v_cmp_gt_f32_e32 vcc, v35, v39
	s_nop 1
	v_cndmask_b32_e32 v35, v39, v35, vcc
	s_nop 1
	v_mov_b32_dpp v39, v35 row_ror:8 row_mask:0xf bank_mask:0xf
	v_cmp_gt_f32_e32 vcc, v35, v39
	s_nop 1
	v_cndmask_b32_e32 v35, v39, v35, vcc
	s_nop 1
	v_mov_b32_dpp v39, v35 row_bcast:15 row_mask:0xf bank_mask:0xf
	v_cmp_gt_f32_e32 vcc, v35, v39
	s_nop 1
	v_cndmask_b32_e32 v35, v39, v35, vcc
	s_nop 1
	v_mov_b32_dpp v39, v35 row_bcast:31 row_mask:0xf bank_mask:0xf
	v_cmp_gt_f32_e32 vcc, v35, v39
	s_nop 1
	v_cndmask_b32_e32 v35, v39, v35, vcc
	ds_bpermute_b32 v35, v23, v35
	s_and_saveexec_b64 s[12:13], s[2:3]
	s_xor_b64 s[12:13], exec, s[12:13]
	s_cbranch_execz .LBB179_13
; %bb.12:                               ;   in Loop: Header=BB179_3 Depth=1
	s_waitcnt lgkmcnt(0)
	ds_write_b32 v24, v35
.LBB179_13:                             ;   in Loop: Header=BB179_3 Depth=1
	s_or_b64 exec, exec, s[12:13]
	s_waitcnt lgkmcnt(0)
	s_barrier
	s_and_saveexec_b64 s[12:13], s[4:5]
	s_cbranch_execz .LBB179_15
; %bb.14:                               ;   in Loop: Header=BB179_3 Depth=1
	ds_read_b32 v35, v25
	s_waitcnt lgkmcnt(0)
	ds_bpermute_b32 v39, v26, v35
	s_waitcnt lgkmcnt(0)
	v_cmp_lt_f32_e32 vcc, v35, v39
	s_nop 1
	v_cndmask_b32_e32 v35, v35, v39, vcc
	ds_bpermute_b32 v39, v27, v35
	s_waitcnt lgkmcnt(0)
	v_cmp_lt_f32_e32 vcc, v35, v39
	s_nop 1
	v_cndmask_b32_e32 v35, v35, v39, vcc
.LBB179_15:                             ;   in Loop: Header=BB179_3 Depth=1
	s_or_b64 exec, exec, s[12:13]
	s_and_saveexec_b64 s[12:13], s[6:7]
	s_cbranch_execz .LBB179_17
; %bb.16:                               ;   in Loop: Header=BB179_3 Depth=1
	ds_write_b32 v11, v35 offset:2056
.LBB179_17:                             ;   in Loop: Header=BB179_3 Depth=1
	s_or_b64 exec, exec, s[12:13]
	s_waitcnt lgkmcnt(0)
	s_barrier
	s_and_saveexec_b64 s[12:13], s[8:9]
	s_xor_b64 s[12:13], exec, s[12:13]
	s_cbranch_execz .LBB179_19
; %bb.18:                               ;   in Loop: Header=BB179_3 Depth=1
	ds_read_b32 v35, v11 offset:2056
                                        ; implicit-def: $vgpr38
.LBB179_19:                             ;   in Loop: Header=BB179_3 Depth=1
	s_andn2_saveexec_b64 s[12:13], s[12:13]
	s_cbranch_execz .LBB179_21
; %bb.20:                               ;   in Loop: Header=BB179_3 Depth=1
	s_waitcnt lgkmcnt(0)
	global_store_dword v38, v35, s[24:25]
.LBB179_21:                             ;   in Loop: Header=BB179_3 Depth=1
	s_or_b64 exec, exec, s[12:13]
	v_and_b32_sdwa v36, v36, s34 dst_sel:DWORD dst_unused:UNUSED_PAD src0_sel:WORD_0 src1_sel:DWORD
	v_cmp_ne_u16_e32 vcc, 0, v36
	s_or_b64 s[12:13], s[18:19], vcc
	s_and_saveexec_b64 s[14:15], s[12:13]
	s_cbranch_execz .LBB179_27
; %bb.22:                               ;   in Loop: Header=BB179_3 Depth=1
	v_mul_f32_e32 v36, 0x4f800000, v34
	v_cmp_gt_f32_e32 vcc, s35, v34
	s_nop 1
	v_cndmask_b32_e32 v36, v34, v36, vcc
	v_sqrt_f32_e32 v37, v36
	s_nop 0
	v_add_u32_e32 v38, -1, v37
	v_fma_f32 v40, -v38, v37, v36
	v_add_u32_e32 v39, 1, v37
	v_cmp_ge_f32_e64 s[12:13], 0, v40
	s_nop 1
	v_cndmask_b32_e64 v38, v37, v38, s[12:13]
	v_fma_f32 v37, -v39, v37, v36
	v_cmp_lt_f32_e64 s[12:13], 0, v37
	s_nop 1
	v_cndmask_b32_e64 v37, v38, v39, s[12:13]
	v_mul_f32_e32 v38, 0x37800000, v37
	v_cndmask_b32_e32 v37, v37, v38, vcc
	v_cmp_class_f32_e32 vcc, v36, v28
	s_nop 1
	v_cndmask_b32_e32 v36, v37, v36, vcc
	v_add_f32_e32 v36, s29, v36
	v_div_scale_f32 v37, s[12:13], v36, v36, v1
	v_rcp_f32_e32 v38, v37
	s_nop 0
	v_fma_f32 v39, -v37, v38, 1.0
	v_fmac_f32_e32 v38, v39, v38
	v_div_scale_f32 v39, vcc, v1, v36, v1
	v_mul_f32_e32 v40, v39, v38
	v_fma_f32 v41, -v37, v40, v39
	v_fmac_f32_e32 v40, v41, v38
	v_fma_f32 v37, -v37, v40, v39
	v_div_fmas_f32 v37, v37, v38, v40
	v_div_fixup_f32 v1, v37, v36, v1
	v_fma_f32 v1, -v1, s30, v15
	v_and_b32_e32 v15, 0x7f800000, v1
	v_cmp_ne_u32_e32 vcc, s36, v15
                                        ; implicit-def: $vgpr15
	s_and_saveexec_b64 s[12:13], vcc
	s_xor_b64 s[12:13], exec, s[12:13]
; %bb.23:                               ;   in Loop: Header=BB179_3 Depth=1
	v_bfe_u32 v15, v1, 16, 1
	v_add3_u32 v15, v1, v15, s34
                                        ; implicit-def: $vgpr1
; %bb.24:                               ;   in Loop: Header=BB179_3 Depth=1
	s_andn2_saveexec_b64 s[12:13], s[12:13]
; %bb.25:                               ;   in Loop: Header=BB179_3 Depth=1
	v_or_b32_e32 v15, 0x10000, v1
	v_cmp_eq_u32_sdwa vcc, v1, v11 src0_sel:WORD_0 src1_sel:DWORD
	s_nop 1
	v_cndmask_b32_e32 v15, v15, v1, vcc
; %bb.26:                               ;   in Loop: Header=BB179_3 Depth=1
	s_or_b64 exec, exec, s[12:13]
	v_lshrrev_b32_e32 v37, 16, v15
.LBB179_27:                             ;   in Loop: Header=BB179_3 Depth=1
	s_or_b64 exec, exec, s[14:15]
	s_waitcnt lgkmcnt(0)
	s_barrier
	ds_write_b16 v22, v37
	; wave barrier
	s_and_saveexec_b64 s[12:13], s[10:11]
	s_cbranch_execz .LBB179_29
; %bb.28:                               ;   in Loop: Header=BB179_3 Depth=1
	ds_read_u16 v36, v22
	v_mov_b32_e32 v1, v11
	v_lshl_add_u64 v[18:19], v[18:19], 0, v[0:1]
	v_mov_b32_e32 v15, v11
	v_lshl_add_u64 v[18:19], v[18:19], 0, v[14:15]
	s_waitcnt lgkmcnt(0)
	global_store_short v[18:19], v36, off
.LBB179_29:                             ;   in Loop: Header=BB179_3 Depth=1
	s_or_b64 exec, exec, s[12:13]
	v_div_scale_f32 v1, s[12:13], v35, v35, v34
	v_rcp_f32_e32 v15, v1
	v_div_scale_f32 v18, vcc, v34, v35, v34
	v_mov_b32_e32 v40, -16
	v_fma_f32 v19, -v1, v15, 1.0
	v_fmac_f32_e32 v15, v19, v15
	v_mul_f32_e32 v19, v18, v15
	v_fma_f32 v36, -v1, v19, v18
	v_fmac_f32_e32 v19, v36, v15
	v_fma_f32 v1, -v1, v19, v18
	v_div_fmas_f32 v1, v1, v15, v19
	v_div_fixup_f32 v1, v1, v35, v34
	v_cmp_lt_f32_e32 vcc, v5, v1
	s_nop 1
	v_cndmask_b32_e64 v15, 0, 1, vcc
	v_lshlrev_b32_e32 v15, 1, v15
	v_cmp_eq_u32_e64 s[12:13], 1, v15
	v_cndmask_b32_e32 v38, 63, v30, vcc
	v_cndmask_b32_e32 v37, -1.0, v5, vcc
	v_cndmask_b32_e64 v18, v4, v5, s[12:13]
	v_cmp_eq_u32_e64 s[12:13], 2, v15
	s_nop 1
	v_cndmask_b32_e64 v39, v18, v2, s[12:13]
	v_cmp_lt_f32_e64 s[12:13], v39, v1
	v_cndmask_b32_e32 v18, 0, v31, vcc
	s_nop 0
	v_cndmask_b32_e64 v15, v32, 32, s[12:13]
	v_add_u32_e32 v19, v15, v38
	v_lshl_add_u32 v35, v19, 2, v20
	ds_read_b32 v15, v35
	v_cndmask_b32_e64 v36, v18, v38, s[12:13]
	v_cndmask_b32_e64 v37, v37, v39, s[12:13]
	v_mov_b32_e32 v18, v19
	s_waitcnt lgkmcnt(0)
	v_cmp_lt_f32_e64 s[14:15], v15, v1
	s_and_saveexec_b64 s[22:23], s[14:15]
; %bb.30:                               ;   in Loop: Header=BB179_3 Depth=1
	v_cndmask_b32_e32 v18, v31, v33, vcc
	v_cndmask_b32_e64 v36, v5, 1.0, vcc
	v_cndmask_b32_e64 v18, v38, v18, s[12:13]
	v_cndmask_b32_e64 v38, v39, v36, s[12:13]
	v_mov_b32_e32 v40, 16
	v_mov_b32_e32 v36, v19
	;; [unrolled: 1-line block ×4, first 2 shown]
; %bb.31:                               ;   in Loop: Header=BB179_3 Depth=1
	s_or_b64 exec, exec, s[22:23]
	v_lshl_add_u32 v35, v40, 2, v35
	ds_read_b32 v41, v35
	v_add_u32_e32 v42, v40, v19
	v_mov_b32_e32 v40, -4
	s_waitcnt lgkmcnt(0)
	v_cmp_lt_f32_e32 vcc, v41, v1
	s_nop 1
	v_cndmask_b32_e64 v43, -8, 8, vcc
	v_lshl_add_u32 v39, v43, 2, v35
	ds_read_b32 v19, v39
	v_cndmask_b32_e32 v38, v37, v41, vcc
	v_add_u32_e32 v37, v43, v42
	v_cndmask_b32_e32 v35, v36, v42, vcc
	v_mov_b32_e32 v36, v37
	s_waitcnt lgkmcnt(0)
	v_cmp_lt_f32_e64 s[12:13], v19, v1
	s_and_saveexec_b64 s[14:15], s[12:13]
; %bb.32:                               ;   in Loop: Header=BB179_3 Depth=1
	v_cndmask_b32_e32 v15, v41, v15, vcc
	v_cndmask_b32_e32 v36, v42, v18, vcc
	v_mov_b32_e32 v40, 4
	v_mov_b32_e32 v35, v37
	v_mov_b32_e32 v38, v19
	v_mov_b32_e32 v19, v15
; %bb.33:                               ;   in Loop: Header=BB179_3 Depth=1
	s_or_b64 exec, exec, s[14:15]
	v_lshl_add_u32 v15, v40, 2, v39
	ds_read_b32 v41, v15
	v_add_u32_e32 v42, v40, v37
	v_mov_b32_e32 v40, -1
	s_waitcnt lgkmcnt(0)
	v_cmp_lt_f32_e32 vcc, v41, v1
	s_nop 1
	v_cndmask_b32_e64 v39, -2, 2, vcc
	v_lshl_add_u32 v15, v39, 2, v15
	ds_read_b32 v18, v15
	v_add_u32_e32 v39, v39, v42
	v_cndmask_b32_e32 v37, v35, v42, vcc
	v_cndmask_b32_e32 v38, v38, v41, vcc
	v_mov_b32_e32 v35, v39
	s_waitcnt lgkmcnt(0)
	v_cmp_lt_f32_e64 s[12:13], v18, v1
	s_and_saveexec_b64 s[14:15], s[12:13]
; %bb.34:                               ;   in Loop: Header=BB179_3 Depth=1
	v_cndmask_b32_e32 v19, v41, v19, vcc
	v_cndmask_b32_e32 v35, v42, v36, vcc
	v_mov_b32_e32 v40, 1
	v_mov_b32_e32 v37, v39
	;; [unrolled: 1-line block ×4, first 2 shown]
; %bb.35:                               ;   in Loop: Header=BB179_3 Depth=1
	s_or_b64 exec, exec, s[14:15]
	v_lshl_add_u32 v15, v40, 2, v15
	ds_read_b32 v36, v15
	v_add_u32_e32 v19, v40, v39
                                        ; implicit-def: $vgpr15
	s_waitcnt lgkmcnt(0)
	v_cmp_nlt_f32_e32 vcc, v36, v1
	s_and_saveexec_b64 s[12:13], vcc
	s_xor_b64 s[12:13], exec, s[12:13]
; %bb.36:                               ;   in Loop: Header=BB179_3 Depth=1
	v_add_f32_e32 v15, v38, v36
	v_mul_f32_e32 v15, 0.5, v15
	v_cmp_gt_f32_e32 vcc, v15, v1
                                        ; implicit-def: $vgpr18
                                        ; implicit-def: $vgpr36
                                        ; implicit-def: $vgpr1
                                        ; implicit-def: $vgpr35
	s_nop 1
	v_cndmask_b32_e32 v15, v19, v37, vcc
                                        ; implicit-def: $vgpr19
; %bb.37:                               ;   in Loop: Header=BB179_3 Depth=1
	s_andn2_saveexec_b64 s[12:13], s[12:13]
; %bb.38:                               ;   in Loop: Header=BB179_3 Depth=1
	v_add_f32_e32 v15, v18, v36
	v_mul_f32_e32 v15, 0.5, v15
	v_cmp_lt_f32_e32 vcc, v15, v1
	s_nop 1
	v_cndmask_b32_e32 v15, v19, v35, vcc
; %bb.39:                               ;   in Loop: Header=BB179_3 Depth=1
	s_or_b64 exec, exec, s[12:13]
	v_lshlrev_b32_e32 v1, 2, v15
	v_mad_u32_u24 v1, v3, s31, v1
	ds_read_b32 v1, v1
	s_waitcnt lgkmcnt(0)
	v_xor_b32_e32 v1, v1, v34
	v_cmp_gt_i32_e32 vcc, 0, v1
	s_and_saveexec_b64 s[12:13], vcc
	s_cbranch_execz .LBB179_45
; %bb.40:                               ;   in Loop: Header=BB179_3 Depth=1
	v_cmp_nlt_f32_e32 vcc, 0, v34
	s_and_saveexec_b64 s[14:15], vcc
	s_xor_b64 s[14:15], exec, s[14:15]
; %bb.41:                               ;   in Loop: Header=BB179_3 Depth=1
	v_add_u16_e32 v15, -1, v15
; %bb.42:                               ;   in Loop: Header=BB179_3 Depth=1
	s_andn2_saveexec_b64 s[14:15], s[14:15]
; %bb.43:                               ;   in Loop: Header=BB179_3 Depth=1
	v_add_u16_e32 v15, 1, v15
; %bb.44:                               ;   in Loop: Header=BB179_3 Depth=1
	s_or_b64 exec, exec, s[14:15]
.LBB179_45:                             ;   in Loop: Header=BB179_3 Depth=1
	s_or_b64 exec, exec, s[12:13]
	s_barrier
	ds_write_b8 v21, v15 offset:2064
	; wave barrier
	s_and_saveexec_b64 s[12:13], s[10:11]
	s_cbranch_execz .LBB179_2
; %bb.46:                               ;   in Loop: Header=BB179_3 Depth=1
	ds_read_u8 v1, v21 offset:2064
	s_waitcnt lgkmcnt(0)
	global_store_byte v[16:17], v1, off
	s_branch .LBB179_2
.LBB179_47:
	s_endpgm
	.section	.rodata,"a",@progbits
	.p2align	6, 0x0
	.amdhsa_kernel _Z35kOptimizerStatic8bit1StateBlockwiseI12hip_bfloat16Li4ELi256ELi1EEvPT_S2_PhfffifPfS4_ffbi
		.amdhsa_group_segment_fixed_size 2592
		.amdhsa_private_segment_fixed_size 0
		.amdhsa_kernarg_size 336
		.amdhsa_user_sgpr_count 2
		.amdhsa_user_sgpr_dispatch_ptr 0
		.amdhsa_user_sgpr_queue_ptr 0
		.amdhsa_user_sgpr_kernarg_segment_ptr 1
		.amdhsa_user_sgpr_dispatch_id 0
		.amdhsa_user_sgpr_kernarg_preload_length 0
		.amdhsa_user_sgpr_kernarg_preload_offset 0
		.amdhsa_user_sgpr_private_segment_size 0
		.amdhsa_uses_dynamic_stack 0
		.amdhsa_enable_private_segment 0
		.amdhsa_system_sgpr_workgroup_id_x 1
		.amdhsa_system_sgpr_workgroup_id_y 0
		.amdhsa_system_sgpr_workgroup_id_z 0
		.amdhsa_system_sgpr_workgroup_info 0
		.amdhsa_system_vgpr_workitem_id 0
		.amdhsa_next_free_vgpr 44
		.amdhsa_next_free_sgpr 37
		.amdhsa_accum_offset 44
		.amdhsa_reserve_vcc 1
		.amdhsa_float_round_mode_32 0
		.amdhsa_float_round_mode_16_64 0
		.amdhsa_float_denorm_mode_32 3
		.amdhsa_float_denorm_mode_16_64 3
		.amdhsa_dx10_clamp 1
		.amdhsa_ieee_mode 1
		.amdhsa_fp16_overflow 0
		.amdhsa_tg_split 0
		.amdhsa_exception_fp_ieee_invalid_op 0
		.amdhsa_exception_fp_denorm_src 0
		.amdhsa_exception_fp_ieee_div_zero 0
		.amdhsa_exception_fp_ieee_overflow 0
		.amdhsa_exception_fp_ieee_underflow 0
		.amdhsa_exception_fp_ieee_inexact 0
		.amdhsa_exception_int_div_zero 0
	.end_amdhsa_kernel
	.section	.text._Z35kOptimizerStatic8bit1StateBlockwiseI12hip_bfloat16Li4ELi256ELi1EEvPT_S2_PhfffifPfS4_ffbi,"axG",@progbits,_Z35kOptimizerStatic8bit1StateBlockwiseI12hip_bfloat16Li4ELi256ELi1EEvPT_S2_PhfffifPfS4_ffbi,comdat
.Lfunc_end179:
	.size	_Z35kOptimizerStatic8bit1StateBlockwiseI12hip_bfloat16Li4ELi256ELi1EEvPT_S2_PhfffifPfS4_ffbi, .Lfunc_end179-_Z35kOptimizerStatic8bit1StateBlockwiseI12hip_bfloat16Li4ELi256ELi1EEvPT_S2_PhfffifPfS4_ffbi
                                        ; -- End function
	.section	.AMDGPU.csdata,"",@progbits
; Kernel info:
; codeLenInByte = 2256
; NumSgprs: 43
; NumVgprs: 44
; NumAgprs: 0
; TotalNumVgprs: 44
; ScratchSize: 0
; MemoryBound: 0
; FloatMode: 240
; IeeeMode: 1
; LDSByteSize: 2592 bytes/workgroup (compile time only)
; SGPRBlocks: 5
; VGPRBlocks: 5
; NumSGPRsForWavesPerEU: 43
; NumVGPRsForWavesPerEU: 44
; AccumOffset: 44
; Occupancy: 8
; WaveLimiterHint : 0
; COMPUTE_PGM_RSRC2:SCRATCH_EN: 0
; COMPUTE_PGM_RSRC2:USER_SGPR: 2
; COMPUTE_PGM_RSRC2:TRAP_HANDLER: 0
; COMPUTE_PGM_RSRC2:TGID_X_EN: 1
; COMPUTE_PGM_RSRC2:TGID_Y_EN: 0
; COMPUTE_PGM_RSRC2:TGID_Z_EN: 0
; COMPUTE_PGM_RSRC2:TIDIG_COMP_CNT: 0
; COMPUTE_PGM_RSRC3_GFX90A:ACCUM_OFFSET: 10
; COMPUTE_PGM_RSRC3_GFX90A:TG_SPLIT: 0
	.text
	.p2alignl 6, 3212836864
	.fill 256, 4, 3212836864
	.type	_ZL22fp4_dequantization_lut,@object ; @_ZL22fp4_dequantization_lut
	.section	.rodata.cst32,"aM",@progbits,32
	.p2align	4, 0x0
_ZL22fp4_dequantization_lut:
	.long	0x00000000                      ; float 0
	.long	0x3baaaaab                      ; float 0.00520833349
	.long	0x3f2aaaab                      ; float 0.666666686
	.long	0x3f800000                      ; float 1
	.long	0x3eaaaaab                      ; float 0.333333343
	.long	0x3f000000                      ; float 0.5
	.long	0x3e2aaaab                      ; float 0.166666672
	.long	0x3e800000                      ; float 0.25
	.size	_ZL22fp4_dequantization_lut, 32

	.type	_ZL22nf4_dequantization_lut,@object ; @_ZL22nf4_dequantization_lut
	.section	.rodata,"a",@progbits
	.p2align	4, 0x0
_ZL22nf4_dequantization_lut:
	.long	0xbf800000                      ; float -1
	.long	0xbf3239b1                      ; float -0.6961928
	.long	0xbf066b30                      ; float -0.525073051
	;; [unrolled: 1-line block ×6, first 2 shown]
	.long	0x00000000                      ; float 0
	.long	0x3da2faff                      ; float 0.0795802995
	.long	0x3e24cae3                      ; float 0.160930201
	.long	0x3e7c04dd                      ; float 0.246112302
	.long	0x3ead033a                      ; float 0.337915242
	.long	0x3ee1a4b8                      ; float 0.440709829
	.long	0x3f1007ab                      ; float 0.562617004
	.long	0x3f3913b3                      ; float 0.722956836
	.long	0x3f800000                      ; float 1
	.size	_ZL22nf4_dequantization_lut, 64

	.type	__hip_cuid_ced06b557ae65c05,@object ; @__hip_cuid_ced06b557ae65c05
	.section	.bss,"aw",@nobits
	.globl	__hip_cuid_ced06b557ae65c05
__hip_cuid_ced06b557ae65c05:
	.byte	0                               ; 0x0
	.size	__hip_cuid_ced06b557ae65c05, 1

	.ident	"AMD clang version 19.0.0git (https://github.com/RadeonOpenCompute/llvm-project roc-6.4.0 25133 c7fe45cf4b819c5991fe208aaa96edf142730f1d)"
	.section	".note.GNU-stack","",@progbits
	.addrsig
	.addrsig_sym __hip_cuid_ced06b557ae65c05
